;; amdgpu-corpus repo=ROCm/rocFFT kind=compiled arch=gfx1030 opt=O3
	.text
	.amdgcn_target "amdgcn-amd-amdhsa--gfx1030"
	.amdhsa_code_object_version 6
	.protected	fft_rtc_back_len968_factors_2_2_2_11_11_wgs_176_tpt_88_dp_op_CI_CI_unitstride_sbrr_dirReg ; -- Begin function fft_rtc_back_len968_factors_2_2_2_11_11_wgs_176_tpt_88_dp_op_CI_CI_unitstride_sbrr_dirReg
	.globl	fft_rtc_back_len968_factors_2_2_2_11_11_wgs_176_tpt_88_dp_op_CI_CI_unitstride_sbrr_dirReg
	.p2align	8
	.type	fft_rtc_back_len968_factors_2_2_2_11_11_wgs_176_tpt_88_dp_op_CI_CI_unitstride_sbrr_dirReg,@function
fft_rtc_back_len968_factors_2_2_2_11_11_wgs_176_tpt_88_dp_op_CI_CI_unitstride_sbrr_dirReg: ; @fft_rtc_back_len968_factors_2_2_2_11_11_wgs_176_tpt_88_dp_op_CI_CI_unitstride_sbrr_dirReg
; %bb.0:
	s_clause 0x2
	s_load_dwordx4 s[12:15], s[4:5], 0x0
	s_load_dwordx4 s[8:11], s[4:5], 0x58
	;; [unrolled: 1-line block ×3, first 2 shown]
	v_mul_u32_u24_e32 v1, 0x2e9, v0
	v_mov_b32_e32 v4, 0
	v_mov_b32_e32 v5, 0
	v_lshrrev_b32_e32 v48, 16, v1
	v_mov_b32_e32 v1, 0
	v_lshl_add_u32 v6, s6, 1, v48
	v_mov_b32_e32 v7, v1
	s_waitcnt lgkmcnt(0)
	v_cmp_lt_u64_e64 s0, s[14:15], 2
	s_and_b32 vcc_lo, exec_lo, s0
	s_cbranch_vccnz .LBB0_8
; %bb.1:
	s_load_dwordx2 s[0:1], s[4:5], 0x10
	v_mov_b32_e32 v4, 0
	v_mov_b32_e32 v5, 0
	s_add_u32 s2, s18, 8
	s_addc_u32 s3, s19, 0
	s_add_u32 s6, s16, 8
	s_addc_u32 s7, s17, 0
	v_mov_b32_e32 v85, v5
	v_mov_b32_e32 v84, v4
	s_mov_b64 s[22:23], 1
	s_waitcnt lgkmcnt(0)
	s_add_u32 s20, s0, 8
	s_addc_u32 s21, s1, 0
.LBB0_2:                                ; =>This Inner Loop Header: Depth=1
	s_load_dwordx2 s[24:25], s[20:21], 0x0
                                        ; implicit-def: $vgpr87_vgpr88
	s_mov_b32 s0, exec_lo
	s_waitcnt lgkmcnt(0)
	v_or_b32_e32 v2, s25, v7
	v_cmpx_ne_u64_e32 0, v[1:2]
	s_xor_b32 s1, exec_lo, s0
	s_cbranch_execz .LBB0_4
; %bb.3:                                ;   in Loop: Header=BB0_2 Depth=1
	v_cvt_f32_u32_e32 v2, s24
	v_cvt_f32_u32_e32 v3, s25
	s_sub_u32 s0, 0, s24
	s_subb_u32 s26, 0, s25
	v_fmac_f32_e32 v2, 0x4f800000, v3
	v_rcp_f32_e32 v2, v2
	v_mul_f32_e32 v2, 0x5f7ffffc, v2
	v_mul_f32_e32 v3, 0x2f800000, v2
	v_trunc_f32_e32 v3, v3
	v_fmac_f32_e32 v2, 0xcf800000, v3
	v_cvt_u32_f32_e32 v3, v3
	v_cvt_u32_f32_e32 v2, v2
	v_mul_lo_u32 v8, s0, v3
	v_mul_hi_u32 v9, s0, v2
	v_mul_lo_u32 v10, s26, v2
	v_add_nc_u32_e32 v8, v9, v8
	v_mul_lo_u32 v9, s0, v2
	v_add_nc_u32_e32 v8, v8, v10
	v_mul_hi_u32 v10, v2, v9
	v_mul_lo_u32 v11, v2, v8
	v_mul_hi_u32 v12, v2, v8
	v_mul_hi_u32 v13, v3, v9
	v_mul_lo_u32 v9, v3, v9
	v_mul_hi_u32 v14, v3, v8
	v_mul_lo_u32 v8, v3, v8
	v_add_co_u32 v10, vcc_lo, v10, v11
	v_add_co_ci_u32_e32 v11, vcc_lo, 0, v12, vcc_lo
	v_add_co_u32 v9, vcc_lo, v10, v9
	v_add_co_ci_u32_e32 v9, vcc_lo, v11, v13, vcc_lo
	v_add_co_ci_u32_e32 v10, vcc_lo, 0, v14, vcc_lo
	v_add_co_u32 v8, vcc_lo, v9, v8
	v_add_co_ci_u32_e32 v9, vcc_lo, 0, v10, vcc_lo
	v_add_co_u32 v2, vcc_lo, v2, v8
	v_add_co_ci_u32_e32 v3, vcc_lo, v3, v9, vcc_lo
	v_mul_hi_u32 v8, s0, v2
	v_mul_lo_u32 v10, s26, v2
	v_mul_lo_u32 v9, s0, v3
	v_add_nc_u32_e32 v8, v8, v9
	v_mul_lo_u32 v9, s0, v2
	v_add_nc_u32_e32 v8, v8, v10
	v_mul_hi_u32 v10, v2, v9
	v_mul_lo_u32 v11, v2, v8
	v_mul_hi_u32 v12, v2, v8
	v_mul_hi_u32 v13, v3, v9
	v_mul_lo_u32 v9, v3, v9
	v_mul_hi_u32 v14, v3, v8
	v_mul_lo_u32 v8, v3, v8
	v_add_co_u32 v10, vcc_lo, v10, v11
	v_add_co_ci_u32_e32 v11, vcc_lo, 0, v12, vcc_lo
	v_add_co_u32 v9, vcc_lo, v10, v9
	v_add_co_ci_u32_e32 v9, vcc_lo, v11, v13, vcc_lo
	v_add_co_ci_u32_e32 v10, vcc_lo, 0, v14, vcc_lo
	v_add_co_u32 v8, vcc_lo, v9, v8
	v_add_co_ci_u32_e32 v9, vcc_lo, 0, v10, vcc_lo
	v_add_co_u32 v8, vcc_lo, v2, v8
	v_add_co_ci_u32_e32 v10, vcc_lo, v3, v9, vcc_lo
	v_mul_hi_u32 v12, v6, v8
	v_mad_u64_u32 v[8:9], null, v7, v8, 0
	v_mad_u64_u32 v[2:3], null, v6, v10, 0
	v_mad_u64_u32 v[10:11], null, v7, v10, 0
	v_add_co_u32 v2, vcc_lo, v12, v2
	v_add_co_ci_u32_e32 v3, vcc_lo, 0, v3, vcc_lo
	v_add_co_u32 v2, vcc_lo, v2, v8
	v_add_co_ci_u32_e32 v2, vcc_lo, v3, v9, vcc_lo
	v_add_co_ci_u32_e32 v3, vcc_lo, 0, v11, vcc_lo
	v_add_co_u32 v8, vcc_lo, v2, v10
	v_add_co_ci_u32_e32 v9, vcc_lo, 0, v3, vcc_lo
	v_mul_lo_u32 v10, s25, v8
	v_mad_u64_u32 v[2:3], null, s24, v8, 0
	v_mul_lo_u32 v11, s24, v9
	v_sub_co_u32 v2, vcc_lo, v6, v2
	v_add3_u32 v3, v3, v11, v10
	v_sub_nc_u32_e32 v10, v7, v3
	v_subrev_co_ci_u32_e64 v10, s0, s25, v10, vcc_lo
	v_add_co_u32 v11, s0, v8, 2
	v_add_co_ci_u32_e64 v12, s0, 0, v9, s0
	v_sub_co_u32 v13, s0, v2, s24
	v_sub_co_ci_u32_e32 v3, vcc_lo, v7, v3, vcc_lo
	v_subrev_co_ci_u32_e64 v10, s0, 0, v10, s0
	v_cmp_le_u32_e32 vcc_lo, s24, v13
	v_cmp_eq_u32_e64 s0, s25, v3
	v_cndmask_b32_e64 v13, 0, -1, vcc_lo
	v_cmp_le_u32_e32 vcc_lo, s25, v10
	v_cndmask_b32_e64 v14, 0, -1, vcc_lo
	v_cmp_le_u32_e32 vcc_lo, s24, v2
	;; [unrolled: 2-line block ×3, first 2 shown]
	v_cndmask_b32_e64 v15, 0, -1, vcc_lo
	v_cmp_eq_u32_e32 vcc_lo, s25, v10
	v_cndmask_b32_e64 v2, v15, v2, s0
	v_cndmask_b32_e32 v10, v14, v13, vcc_lo
	v_add_co_u32 v13, vcc_lo, v8, 1
	v_add_co_ci_u32_e32 v14, vcc_lo, 0, v9, vcc_lo
	v_cmp_ne_u32_e32 vcc_lo, 0, v10
	v_cndmask_b32_e32 v3, v14, v12, vcc_lo
	v_cndmask_b32_e32 v10, v13, v11, vcc_lo
	v_cmp_ne_u32_e32 vcc_lo, 0, v2
	v_cndmask_b32_e32 v88, v9, v3, vcc_lo
	v_cndmask_b32_e32 v87, v8, v10, vcc_lo
.LBB0_4:                                ;   in Loop: Header=BB0_2 Depth=1
	s_andn2_saveexec_b32 s0, s1
	s_cbranch_execz .LBB0_6
; %bb.5:                                ;   in Loop: Header=BB0_2 Depth=1
	v_cvt_f32_u32_e32 v2, s24
	s_sub_i32 s1, 0, s24
	v_mov_b32_e32 v88, v1
	v_rcp_iflag_f32_e32 v2, v2
	v_mul_f32_e32 v2, 0x4f7ffffe, v2
	v_cvt_u32_f32_e32 v2, v2
	v_mul_lo_u32 v3, s1, v2
	v_mul_hi_u32 v3, v2, v3
	v_add_nc_u32_e32 v2, v2, v3
	v_mul_hi_u32 v2, v6, v2
	v_mul_lo_u32 v3, v2, s24
	v_add_nc_u32_e32 v8, 1, v2
	v_sub_nc_u32_e32 v3, v6, v3
	v_subrev_nc_u32_e32 v9, s24, v3
	v_cmp_le_u32_e32 vcc_lo, s24, v3
	v_cndmask_b32_e32 v3, v3, v9, vcc_lo
	v_cndmask_b32_e32 v2, v2, v8, vcc_lo
	v_cmp_le_u32_e32 vcc_lo, s24, v3
	v_add_nc_u32_e32 v8, 1, v2
	v_cndmask_b32_e32 v87, v2, v8, vcc_lo
.LBB0_6:                                ;   in Loop: Header=BB0_2 Depth=1
	s_or_b32 exec_lo, exec_lo, s0
	v_mul_lo_u32 v8, v88, s24
	v_mul_lo_u32 v9, v87, s25
	s_load_dwordx2 s[0:1], s[6:7], 0x0
	v_mad_u64_u32 v[2:3], null, v87, s24, 0
	s_load_dwordx2 s[24:25], s[2:3], 0x0
	s_add_u32 s22, s22, 1
	s_addc_u32 s23, s23, 0
	s_add_u32 s2, s2, 8
	s_addc_u32 s3, s3, 0
	s_add_u32 s6, s6, 8
	v_add3_u32 v3, v3, v9, v8
	v_sub_co_u32 v2, vcc_lo, v6, v2
	s_addc_u32 s7, s7, 0
	s_add_u32 s20, s20, 8
	v_sub_co_ci_u32_e32 v3, vcc_lo, v7, v3, vcc_lo
	s_addc_u32 s21, s21, 0
	s_waitcnt lgkmcnt(0)
	v_mul_lo_u32 v6, s0, v3
	v_mul_lo_u32 v7, s1, v2
	v_mad_u64_u32 v[4:5], null, s0, v2, v[4:5]
	v_mul_lo_u32 v3, s24, v3
	v_mul_lo_u32 v8, s25, v2
	v_mad_u64_u32 v[84:85], null, s24, v2, v[84:85]
	v_cmp_ge_u64_e64 s0, s[22:23], s[14:15]
	v_add3_u32 v5, v7, v5, v6
	v_add3_u32 v85, v8, v85, v3
	s_and_b32 vcc_lo, exec_lo, s0
	s_cbranch_vccnz .LBB0_9
; %bb.7:                                ;   in Loop: Header=BB0_2 Depth=1
	v_mov_b32_e32 v6, v87
	v_mov_b32_e32 v7, v88
	s_branch .LBB0_2
.LBB0_8:
	v_mov_b32_e32 v85, v5
	v_mov_b32_e32 v88, v7
	;; [unrolled: 1-line block ×4, first 2 shown]
.LBB0_9:
	s_load_dwordx2 s[0:1], s[4:5], 0x28
	v_mul_hi_u32 v1, 0x2e8ba2f, v0
	s_lshl_b64 s[4:5], s[14:15], 3
                                        ; implicit-def: $sgpr6
                                        ; implicit-def: $vgpr91
	s_add_u32 s2, s18, s4
	s_addc_u32 s3, s19, s5
	s_waitcnt lgkmcnt(0)
	v_cmp_gt_u64_e32 vcc_lo, s[0:1], v[87:88]
	v_cmp_le_u64_e64 s0, s[0:1], v[87:88]
	s_and_saveexec_b32 s1, s0
	s_xor_b32 s0, exec_lo, s1
; %bb.10:
	v_mul_u32_u24_e32 v1, 0x58, v1
	s_mov_b32 s6, 0
                                        ; implicit-def: $vgpr4_vgpr5
	v_sub_nc_u32_e32 v91, v0, v1
                                        ; implicit-def: $vgpr1
                                        ; implicit-def: $vgpr0
; %bb.11:
	s_or_saveexec_b32 s1, s0
	s_load_dwordx2 s[2:3], s[2:3], 0x0
	v_mov_b32_e32 v86, s6
                                        ; implicit-def: $vgpr34_vgpr35
                                        ; implicit-def: $vgpr22_vgpr23
                                        ; implicit-def: $vgpr2_vgpr3
                                        ; implicit-def: $vgpr14_vgpr15
                                        ; implicit-def: $vgpr30_vgpr31
                                        ; implicit-def: $vgpr18_vgpr19
                                        ; implicit-def: $vgpr38_vgpr39
                                        ; implicit-def: $vgpr26_vgpr27
                                        ; implicit-def: $vgpr42_vgpr43
                                        ; implicit-def: $vgpr10_vgpr11
                                        ; implicit-def: $vgpr46_vgpr47
                                        ; implicit-def: $vgpr6_vgpr7
	s_xor_b32 exec_lo, exec_lo, s1
	s_cbranch_execz .LBB0_15
; %bb.12:
	s_add_u32 s4, s16, s4
	s_addc_u32 s5, s17, s5
                                        ; implicit-def: $vgpr32_vgpr33
	s_load_dwordx2 s[4:5], s[4:5], 0x0
	s_waitcnt lgkmcnt(0)
	v_mul_lo_u32 v6, s5, v87
	v_mul_lo_u32 v7, s4, v88
	v_mad_u64_u32 v[2:3], null, s4, v87, 0
	s_mov_b32 s4, exec_lo
	v_add3_u32 v3, v3, v7, v6
	v_mul_u32_u24_e32 v6, 0x58, v1
	v_lshlrev_b64 v[1:2], 4, v[2:3]
	v_lshlrev_b64 v[3:4], 4, v[4:5]
	v_sub_nc_u32_e32 v91, v0, v6
	v_add_co_u32 v0, s0, s8, v1
	v_add_co_ci_u32_e64 v1, s0, s9, v2, s0
	v_lshlrev_b32_e32 v2, 4, v91
	v_add_co_u32 v0, s0, v0, v3
	v_add_co_ci_u32_e64 v1, s0, v1, v4, s0
	v_add_co_u32 v22, s0, v0, v2
	v_add_co_ci_u32_e64 v23, s0, 0, v1, s0
	s_clause 0x1
	global_load_dwordx4 v[4:7], v[22:23], off
	global_load_dwordx4 v[8:11], v[22:23], off offset:1408
	v_add_co_u32 v34, s0, 0x1800, v22
	v_add_co_ci_u32_e64 v35, s0, 0, v23, s0
	v_add_co_u32 v0, s0, 0x2000, v22
	v_add_co_ci_u32_e64 v1, s0, 0, v23, s0
	;; [unrolled: 2-line block ×6, first 2 shown]
	s_clause 0x7
	global_load_dwordx4 v[44:47], v[34:35], off offset:1600
	global_load_dwordx4 v[40:43], v[0:1], off offset:960
	global_load_dwordx4 v[24:27], v[2:3], off offset:768
	global_load_dwordx4 v[36:39], v[12:13], off offset:320
	global_load_dwordx4 v[16:19], v[14:15], off offset:128
	global_load_dwordx4 v[28:31], v[12:13], off offset:1728
	global_load_dwordx4 v[12:15], v[14:15], off offset:1536
	global_load_dwordx4 v[0:3], v[20:21], off offset:1088
                                        ; implicit-def: $vgpr20_vgpr21
	v_cmpx_gt_u32_e32 44, v91
; %bb.13:
	v_add_co_u32 v32, s0, 0x3800, v22
	v_add_co_ci_u32_e64 v33, s0, 0, v23, s0
	s_clause 0x1
	global_load_dwordx4 v[20:23], v[34:35], off offset:896
	global_load_dwordx4 v[32:35], v[32:33], off offset:448
; %bb.14:
	s_or_b32 exec_lo, exec_lo, s4
	v_mov_b32_e32 v86, v91
.LBB0_15:
	s_or_b32 exec_lo, exec_lo, s1
	s_waitcnt vmcnt(7)
	v_add_f64 v[44:45], v[4:5], -v[44:45]
	v_add_f64 v[46:47], v[6:7], -v[46:47]
	s_waitcnt vmcnt(6)
	v_add_f64 v[40:41], v[8:9], -v[40:41]
	v_add_f64 v[42:43], v[10:11], -v[42:43]
	;; [unrolled: 3-line block ×5, first 2 shown]
	v_add_f64 v[0:1], v[20:21], -v[32:33]
	v_add_f64 v[2:3], v[22:23], -v[34:35]
	v_and_b32_e32 v32, 1, v48
	v_add_nc_u32_e32 v49, 0x58, v91
	v_add_nc_u32_e32 v50, 0xb0, v91
	v_lshlrev_b32_e32 v48, 5, v91
	v_add_nc_u32_e32 v51, 0x108, v91
	v_cmp_eq_u32_e64 s0, 1, v32
	v_lshlrev_b32_e32 v57, 5, v49
	v_cndmask_b32_e64 v52, 0, 0x3c8, s0
	v_fma_f64 v[32:33], v[4:5], 2.0, -v[44:45]
	v_fma_f64 v[34:35], v[6:7], 2.0, -v[46:47]
	;; [unrolled: 1-line block ×12, first 2 shown]
	v_lshlrev_b32_e32 v92, 4, v52
	v_add_nc_u32_e32 v52, 0x160, v91
	v_lshlrev_b32_e32 v20, 5, v50
	v_lshlrev_b32_e32 v23, 5, v51
	v_cmp_gt_u32_e64 s0, 44, v91
	v_add3_u32 v21, 0, v48, v92
	v_lshlrev_b32_e32 v48, 5, v52
	v_add3_u32 v22, 0, v57, v92
	v_add3_u32 v20, 0, v20, v92
	ds_write_b128 v21, v[44:47] offset:16
	ds_write_b128 v22, v[40:43] offset:16
	ds_write_b128 v21, v[32:35]
	ds_write_b128 v22, v[8:11]
	;; [unrolled: 1-line block ×3, first 2 shown]
	v_add3_u32 v8, 0, v23, v92
	v_add3_u32 v9, 0, v48, v92
	v_add_nc_u32_e32 v48, 0x1b8, v91
	ds_write_b128 v20, v[36:39] offset:16
	ds_write_b128 v8, v[16:19]
	ds_write_b128 v8, v[28:31] offset:16
	ds_write_b128 v9, v[12:15]
	ds_write_b128 v9, v[53:56] offset:16
	s_and_saveexec_b32 s1, s0
	s_cbranch_execz .LBB0_17
; %bb.16:
	v_lshlrev_b32_e32 v8, 5, v48
	v_add3_u32 v8, 0, v8, v92
	ds_write_b128 v8, v[4:7]
	ds_write_b128 v8, v[0:3] offset:16
.LBB0_17:
	s_or_b32 exec_lo, exec_lo, s1
	v_lshlrev_b32_e32 v8, 4, v91
	s_waitcnt lgkmcnt(0)
	s_barrier
	buffer_gl0_inv
	v_lshlrev_b32_e32 v56, 1, v91
	v_add3_u32 v89, 0, v92, v8
	v_add3_u32 v90, 0, v8, v92
	v_lshlrev_b32_e32 v55, 1, v49
	v_lshlrev_b32_e32 v54, 1, v50
	;; [unrolled: 1-line block ×3, first 2 shown]
	ds_read_b128 v[8:11], v89
	ds_read_b128 v[12:15], v90 offset:1408
	ds_read_b128 v[28:31], v90 offset:9152
	;; [unrolled: 1-line block ×9, first 2 shown]
	v_lshlrev_b32_e32 v52, 1, v52
	s_and_saveexec_b32 s1, s0
	s_cbranch_execz .LBB0_19
; %bb.18:
	ds_read_b128 v[4:7], v90 offset:7040
	ds_read_b128 v[0:3], v90 offset:14784
.LBB0_19:
	s_or_b32 exec_lo, exec_lo, s1
	v_and_b32_e32 v49, 1, v91
	v_lshlrev_b32_e32 v50, 4, v49
	global_load_dwordx4 v[57:60], v50, s[12:13]
	s_waitcnt vmcnt(0) lgkmcnt(0)
	s_barrier
	buffer_gl0_inv
	v_mul_f64 v[50:51], v[46:47], v[59:60]
	v_mul_f64 v[61:62], v[44:45], v[59:60]
	;; [unrolled: 1-line block ×12, first 2 shown]
	v_fma_f64 v[44:45], v[44:45], v[57:58], v[50:51]
	v_fma_f64 v[46:47], v[46:47], v[57:58], -v[61:62]
	v_fma_f64 v[50:51], v[28:29], v[57:58], v[63:64]
	v_fma_f64 v[61:62], v[30:31], v[57:58], -v[65:66]
	;; [unrolled: 2-line block ×6, first 2 shown]
	v_lshlrev_b32_e32 v57, 1, v48
	v_and_or_b32 v48, 0xfc, v56, v49
	v_and_or_b32 v58, 0x3fc, v53, v49
	;; [unrolled: 1-line block ×3, first 2 shown]
	v_lshlrev_b32_e32 v48, 4, v48
	v_lshlrev_b32_e32 v58, 4, v58
	;; [unrolled: 1-line block ×3, first 2 shown]
	v_add_f64 v[28:29], v[8:9], -v[44:45]
	v_add_f64 v[30:31], v[10:11], -v[46:47]
	;; [unrolled: 1-line block ×12, first 2 shown]
	v_and_or_b32 v50, 0x1fc, v55, v49
	v_and_or_b32 v51, 0x3fc, v54, v49
	v_add3_u32 v48, 0, v48, v92
	v_add3_u32 v58, 0, v58, v92
	;; [unrolled: 1-line block ×3, first 2 shown]
	v_lshlrev_b32_e32 v50, 4, v50
	v_lshlrev_b32_e32 v51, 4, v51
	v_add3_u32 v50, 0, v50, v92
	v_fma_f64 v[8:9], v[8:9], 2.0, -v[28:29]
	v_fma_f64 v[10:11], v[10:11], 2.0, -v[30:31]
	v_fma_f64 v[12:13], v[12:13], 2.0, -v[32:33]
	v_fma_f64 v[14:15], v[14:15], 2.0, -v[34:35]
	v_fma_f64 v[20:21], v[20:21], 2.0, -v[36:37]
	v_fma_f64 v[22:23], v[22:23], 2.0, -v[38:39]
	v_fma_f64 v[16:17], v[16:17], 2.0, -v[40:41]
	v_fma_f64 v[18:19], v[18:19], 2.0, -v[42:43]
	v_fma_f64 v[24:25], v[24:25], 2.0, -v[44:45]
	v_fma_f64 v[4:5], v[4:5], 2.0, -v[0:1]
	v_fma_f64 v[6:7], v[6:7], 2.0, -v[2:3]
	v_fma_f64 v[26:27], v[26:27], 2.0, -v[46:47]
	v_add3_u32 v51, 0, v51, v92
	ds_write_b128 v48, v[28:31] offset:32
	ds_write_b128 v48, v[8:11]
	ds_write_b128 v50, v[12:15]
	ds_write_b128 v50, v[32:35] offset:32
	ds_write_b128 v51, v[20:23]
	ds_write_b128 v51, v[36:39] offset:32
	;; [unrolled: 2-line block ×4, first 2 shown]
	s_and_saveexec_b32 s1, s0
	s_cbranch_execz .LBB0_21
; %bb.20:
	v_and_or_b32 v8, 0x3fc, v57, v49
	v_lshlrev_b32_e32 v8, 4, v8
	v_add3_u32 v8, 0, v8, v92
	ds_write_b128 v8, v[4:7]
	ds_write_b128 v8, v[0:3] offset:32
.LBB0_21:
	s_or_b32 exec_lo, exec_lo, s1
	s_waitcnt lgkmcnt(0)
	s_barrier
	buffer_gl0_inv
	ds_read_b128 v[8:11], v89
	ds_read_b128 v[12:15], v90 offset:1408
	ds_read_b128 v[32:35], v90 offset:9152
	;; [unrolled: 1-line block ×9, first 2 shown]
	s_and_saveexec_b32 s1, s0
	s_cbranch_execz .LBB0_23
; %bb.22:
	ds_read_b128 v[4:7], v90 offset:7040
	ds_read_b128 v[0:3], v90 offset:14784
.LBB0_23:
	s_or_b32 exec_lo, exec_lo, s1
	v_and_b32_e32 v58, 3, v91
	v_lshlrev_b32_e32 v28, 4, v58
	v_and_or_b32 v56, 0xf8, v56, v58
	v_and_or_b32 v55, 0x1f8, v55, v58
	;; [unrolled: 1-line block ×4, first 2 shown]
	global_load_dwordx4 v[28:31], v28, s[12:13] offset:32
	v_and_or_b32 v52, 0x3f8, v52, v58
	v_lshlrev_b32_e32 v56, 4, v56
	v_lshlrev_b32_e32 v55, 4, v55
	;; [unrolled: 1-line block ×5, first 2 shown]
	v_add3_u32 v56, 0, v56, v92
	v_add3_u32 v55, 0, v55, v92
	;; [unrolled: 1-line block ×3, first 2 shown]
	s_waitcnt vmcnt(0) lgkmcnt(0)
	s_barrier
	buffer_gl0_inv
	v_add3_u32 v53, 0, v53, v92
	v_add3_u32 v52, 0, v52, v92
	v_mul_f64 v[59:60], v[50:51], v[30:31]
	v_mul_f64 v[61:62], v[48:49], v[30:31]
	;; [unrolled: 1-line block ×10, first 2 shown]
	v_fma_f64 v[48:49], v[48:49], v[28:29], v[59:60]
	v_fma_f64 v[50:51], v[50:51], v[28:29], -v[61:62]
	v_fma_f64 v[59:60], v[32:33], v[28:29], v[63:64]
	v_fma_f64 v[61:62], v[34:35], v[28:29], -v[65:66]
	;; [unrolled: 2-line block ×5, first 2 shown]
	v_add_f64 v[32:33], v[8:9], -v[48:49]
	v_add_f64 v[34:35], v[10:11], -v[50:51]
	;; [unrolled: 1-line block ×10, first 2 shown]
	v_fma_f64 v[8:9], v[8:9], 2.0, -v[32:33]
	v_fma_f64 v[10:11], v[10:11], 2.0, -v[34:35]
	;; [unrolled: 1-line block ×10, first 2 shown]
	ds_write_b128 v56, v[32:35] offset:64
	ds_write_b128 v56, v[8:11]
	ds_write_b128 v55, v[12:15]
	ds_write_b128 v55, v[36:39] offset:64
	ds_write_b128 v54, v[20:23]
	ds_write_b128 v54, v[40:43] offset:64
	;; [unrolled: 2-line block ×4, first 2 shown]
	s_and_saveexec_b32 s1, s0
	s_cbranch_execz .LBB0_25
; %bb.24:
	v_mul_f64 v[8:9], v[0:1], v[30:31]
	v_mul_f64 v[10:11], v[2:3], v[30:31]
	v_fma_f64 v[2:3], v[2:3], v[28:29], -v[8:9]
	v_fma_f64 v[0:1], v[0:1], v[28:29], v[10:11]
	v_and_or_b32 v8, 0x3f8, v57, v58
	v_lshlrev_b32_e32 v8, 4, v8
	v_add3_u32 v8, 0, v8, v92
	v_add_f64 v[2:3], v[6:7], -v[2:3]
	v_add_f64 v[0:1], v[4:5], -v[0:1]
	v_fma_f64 v[6:7], v[6:7], 2.0, -v[2:3]
	v_fma_f64 v[4:5], v[4:5], 2.0, -v[0:1]
	ds_write_b128 v8, v[4:7]
	ds_write_b128 v8, v[0:3] offset:64
.LBB0_25:
	s_or_b32 exec_lo, exec_lo, s1
	v_and_b32_e32 v93, 7, v91
	s_waitcnt lgkmcnt(0)
	s_barrier
	buffer_gl0_inv
	v_lshrrev_b32_e32 v114, 3, v91
	v_mul_u32_u24_e32 v0, 10, v93
	s_mov_b32 s14, 0xf8bb580b
	s_mov_b32 s0, 0x8764f0ba
	;; [unrolled: 1-line block ×4, first 2 shown]
	v_lshlrev_b32_e32 v0, 4, v0
	s_mov_b32 s18, 0x8eee2c13
	s_mov_b32 s4, 0xd9c712b6
	;; [unrolled: 1-line block ×4, first 2 shown]
	s_clause 0x9
	global_load_dwordx4 v[4:7], v0, s[12:13] offset:96
	global_load_dwordx4 v[12:15], v0, s[12:13] offset:240
	;; [unrolled: 1-line block ×10, first 2 shown]
	ds_read_b128 v[52:55], v90 offset:14080
	ds_read_b128 v[48:51], v90 offset:2816
	;; [unrolled: 1-line block ×4, first 2 shown]
	ds_read_b128 v[0:3], v89
	ds_read_b128 v[68:71], v90 offset:5632
	ds_read_b128 v[60:63], v90 offset:7040
	;; [unrolled: 1-line block ×6, first 2 shown]
	s_mov_b32 s22, 0x43842ef
	s_mov_b32 s6, 0x640f44db
	s_mov_b32 s23, 0xbfefac9e
	s_mov_b32 s7, 0xbfc2375f
	s_mov_b32 s28, 0xbb3a28a1
	s_mov_b32 s8, 0x7f775887
	s_mov_b32 s29, 0xbfe82f19
	s_mov_b32 s9, 0xbfe4f49e
	s_mov_b32 s30, 0xfd768dbf
	s_mov_b32 s16, 0x9bcd5057
	s_mov_b32 s31, 0xbfd207e7
	s_mov_b32 s17, 0xbfeeb42a
	s_mov_b32 s21, 0x3fe14ced
	s_mov_b32 s20, s14
	s_mov_b32 s25, 0x3fed1bb4
	s_mov_b32 s27, 0x3fefac9e
	s_mov_b32 s35, 0x3fd207e7
	s_mov_b32 s24, s18
	s_mov_b32 s26, s22
	s_mov_b32 s34, s30
	s_mov_b32 s37, 0x3fe82f19
	s_mov_b32 s36, s28
	s_waitcnt vmcnt(0) lgkmcnt(0)
	s_barrier
	buffer_gl0_inv
	v_mul_f64 v[94:95], v[56:57], v[6:7]
	v_mul_f64 v[96:97], v[52:53], v[14:15]
	;; [unrolled: 1-line block ×20, first 2 shown]
	v_fma_f64 v[58:59], v[58:59], v[4:5], -v[94:95]
	v_fma_f64 v[54:55], v[54:55], v[12:13], -v[96:97]
	v_fma_f64 v[4:5], v[56:57], v[4:5], v[6:7]
	v_fma_f64 v[52:53], v[52:53], v[12:13], v[14:15]
	v_fma_f64 v[6:7], v[50:51], v[8:9], -v[98:99]
	v_fma_f64 v[12:13], v[82:83], v[40:41], -v[100:101]
	;; [unrolled: 1-line block ×6, first 2 shown]
	v_fma_f64 v[8:9], v[48:49], v[8:9], v[10:11]
	v_fma_f64 v[28:29], v[44:45], v[28:29], v[30:31]
	;; [unrolled: 1-line block ×6, first 2 shown]
	v_fma_f64 v[20:21], v[62:63], v[20:21], -v[22:23]
	v_fma_f64 v[22:23], v[66:67], v[16:17], -v[112:113]
	v_fma_f64 v[16:17], v[64:65], v[16:17], v[18:19]
	v_fma_f64 v[10:11], v[80:81], v[40:41], v[42:43]
	v_mul_u32_u24_e32 v94, 0x58, v114
	v_add_f64 v[18:19], v[58:59], -v[54:55]
	v_add_f64 v[34:35], v[58:59], v[54:55]
	v_add_f64 v[36:37], v[4:5], v[52:53]
	v_add_f64 v[38:39], v[4:5], -v[52:53]
	v_add_f64 v[4:5], v[0:1], v[4:5]
	v_add_f64 v[58:59], v[2:3], v[58:59]
	v_add_f64 v[40:41], v[6:7], -v[12:13]
	v_add_f64 v[42:43], v[6:7], v[12:13]
	v_or_b32_e32 v243, v94, v93
	v_add_f64 v[44:45], v[14:15], -v[46:47]
	v_add_f64 v[48:49], v[14:15], v[46:47]
	v_add_f64 v[60:61], v[50:51], -v[56:57]
	v_add_f64 v[72:73], v[50:51], v[56:57]
	v_add_f64 v[66:67], v[28:29], v[30:31]
	v_add_f64 v[68:69], v[28:29], -v[30:31]
	v_add_f64 v[70:71], v[24:25], v[26:27]
	v_add_f64 v[76:77], v[20:21], -v[22:23]
	v_add_f64 v[80:81], v[20:21], v[22:23]
	v_add_f64 v[62:63], v[8:9], v[10:11]
	v_add_f64 v[64:65], v[8:9], -v[10:11]
	v_add_f64 v[74:75], v[24:25], -v[26:27]
	v_add_f64 v[78:79], v[32:33], v[16:17]
	v_mul_f64 v[93:94], v[18:19], s[14:15]
	v_mul_f64 v[95:96], v[34:35], s[0:1]
	;; [unrolled: 1-line block ×4, first 2 shown]
	v_add_f64 v[4:5], v[4:5], v[8:9]
	v_add_f64 v[6:7], v[58:59], v[6:7]
	v_mul_f64 v[101:102], v[18:19], s[22:23]
	v_mul_f64 v[103:104], v[34:35], s[6:7]
	;; [unrolled: 1-line block ×8, first 2 shown]
	v_add_f64 v[82:83], v[32:33], -v[16:17]
	v_mul_f64 v[113:114], v[44:45], s[22:23]
	v_mul_f64 v[115:116], v[48:49], s[6:7]
	;; [unrolled: 1-line block ×7, first 2 shown]
	v_fma_f64 v[169:170], v[36:37], s[0:1], v[93:94]
	v_fma_f64 v[171:172], v[38:39], s[20:21], v[95:96]
	v_mul_f64 v[121:122], v[42:43], s[8:9]
	v_mul_f64 v[123:124], v[42:43], s[16:17]
	v_add_f64 v[4:5], v[4:5], v[28:29]
	v_add_f64 v[6:7], v[6:7], v[14:15]
	v_mul_f64 v[125:126], v[42:43], s[6:7]
	v_mul_f64 v[42:43], v[42:43], s[0:1]
	;; [unrolled: 1-line block ×20, first 2 shown]
	v_add_f64 v[4:5], v[4:5], v[24:25]
	v_add_f64 v[6:7], v[6:7], v[50:51]
	v_mul_f64 v[155:156], v[76:77], s[20:21]
	v_mul_f64 v[157:158], v[76:77], s[28:29]
	;; [unrolled: 1-line block ×9, first 2 shown]
	v_fma_f64 v[93:94], v[36:37], s[0:1], -v[93:94]
	v_fma_f64 v[95:96], v[38:39], s[14:15], v[95:96]
	v_fma_f64 v[173:174], v[36:37], s[4:5], v[97:98]
	;; [unrolled: 1-line block ×5, first 2 shown]
	v_fma_f64 v[101:102], v[36:37], s[6:7], -v[101:102]
	v_fma_f64 v[181:182], v[36:37], s[8:9], v[105:106]
	v_fma_f64 v[183:184], v[38:39], s[36:37], v[107:108]
	v_fma_f64 v[97:98], v[36:37], s[4:5], -v[97:98]
	v_fma_f64 v[105:106], v[36:37], s[8:9], -v[105:106]
	v_fma_f64 v[185:186], v[36:37], s[16:17], v[18:19]
	v_fma_f64 v[18:19], v[36:37], s[16:17], -v[18:19]
	v_fma_f64 v[36:37], v[38:39], s[34:35], v[34:35]
	v_fma_f64 v[34:35], v[38:39], s[30:31], v[34:35]
	v_fma_f64 v[107:108], v[38:39], s[28:29], v[107:108]
	v_fma_f64 v[103:104], v[38:39], s[22:23], v[103:104]
	v_fma_f64 v[99:100], v[38:39], s[18:19], v[99:100]
	v_add_f64 v[4:5], v[4:5], v[32:33]
	v_add_f64 v[6:7], v[6:7], v[20:21]
	v_fma_f64 v[38:39], v[62:63], s[4:5], v[109:110]
	v_fma_f64 v[187:188], v[64:65], s[24:25], v[111:112]
	v_add_f64 v[20:21], v[0:1], v[169:170]
	v_add_f64 v[32:33], v[2:3], v[171:172]
	v_fma_f64 v[189:190], v[66:67], s[6:7], v[113:114]
	v_fma_f64 v[191:192], v[68:69], s[26:27], v[115:116]
	v_fma_f64 v[193:194], v[70:71], s[8:9], v[117:118]
	v_fma_f64 v[14:15], v[62:63], s[4:5], -v[109:110]
	v_fma_f64 v[28:29], v[62:63], s[8:9], v[8:9]
	v_fma_f64 v[8:9], v[62:63], s[8:9], -v[8:9]
	v_fma_f64 v[109:110], v[62:63], s[16:17], v[58:59]
	v_fma_f64 v[58:59], v[62:63], s[16:17], -v[58:59]
	v_fma_f64 v[195:196], v[62:63], s[6:7], v[119:120]
	v_fma_f64 v[119:120], v[62:63], s[6:7], -v[119:120]
	v_fma_f64 v[197:198], v[62:63], s[0:1], v[40:41]
	v_fma_f64 v[40:41], v[62:63], s[0:1], -v[40:41]
	v_fma_f64 v[62:63], v[64:65], s[18:19], v[111:112]
	v_fma_f64 v[111:112], v[64:65], s[36:37], v[121:122]
	v_fma_f64 v[121:122], v[64:65], s[28:29], v[121:122]
	v_fma_f64 v[199:200], v[64:65], s[30:31], v[123:124]
	v_fma_f64 v[123:124], v[64:65], s[34:35], v[123:124]
	v_fma_f64 v[201:202], v[64:65], s[22:23], v[125:126]
	v_fma_f64 v[125:126], v[64:65], s[26:27], v[125:126]
	v_fma_f64 v[203:204], v[64:65], s[14:15], v[42:43]
	v_fma_f64 v[42:43], v[64:65], s[20:21], v[42:43]
	v_fma_f64 v[64:65], v[66:67], s[6:7], -v[113:114]
	v_fma_f64 v[113:114], v[66:67], s[16:17], v[127:128]
	v_fma_f64 v[127:128], v[66:67], s[16:17], -v[127:128]
	v_fma_f64 v[205:206], v[66:67], s[4:5], v[129:130]
	v_fma_f64 v[129:130], v[66:67], s[4:5], -v[129:130]
	v_fma_f64 v[207:208], v[66:67], s[0:1], v[131:132]
	v_fma_f64 v[131:132], v[66:67], s[0:1], -v[131:132]
	v_fma_f64 v[209:210], v[66:67], s[8:9], v[44:45]
	v_fma_f64 v[44:45], v[66:67], s[8:9], -v[44:45]
	v_fma_f64 v[66:67], v[68:69], s[22:23], v[115:116]
	v_fma_f64 v[115:116], v[68:69], s[30:31], v[133:134]
	v_fma_f64 v[133:134], v[68:69], s[34:35], v[133:134]
	v_fma_f64 v[211:212], v[68:69], s[18:19], v[135:136]
	v_fma_f64 v[135:136], v[68:69], s[24:25], v[135:136]
	v_fma_f64 v[213:214], v[68:69], s[20:21], v[137:138]
	;; [unrolled: 18-line block ×3, first 2 shown]
	v_fma_f64 v[227:228], v[74:75], s[34:35], v[151:152]
	v_fma_f64 v[151:152], v[74:75], s[30:31], v[151:152]
	;; [unrolled: 1-line block ×5, first 2 shown]
	v_fma_f64 v[50:51], v[78:79], s[16:17], -v[153:154]
	v_fma_f64 v[74:75], v[78:79], s[0:1], v[155:156]
	v_fma_f64 v[153:154], v[78:79], s[0:1], -v[155:156]
	v_fma_f64 v[155:156], v[78:79], s[8:9], v[157:158]
	;; [unrolled: 2-line block ×5, first 2 shown]
	v_fma_f64 v[161:162], v[82:83], s[30:31], v[161:162]
	v_fma_f64 v[235:236], v[82:83], s[14:15], v[163:164]
	;; [unrolled: 1-line block ×9, first 2 shown]
	v_add_f64 v[82:83], v[0:1], v[93:94]
	v_add_f64 v[93:94], v[2:3], v[95:96]
	;; [unrolled: 1-line block ×108, first 2 shown]
	v_lshlrev_b32_e32 v44, 4, v243
	v_add3_u32 v44, 0, v44, v92
	ds_write_b128 v44, v[0:3] offset:128
	ds_write_b128 v44, v[8:11] offset:256
	ds_write_b128 v44, v[16:19] offset:384
	ds_write_b128 v44, v[24:27] offset:512
	ds_write_b128 v44, v[32:35] offset:640
	ds_write_b128 v44, v[36:39] offset:768
	ds_write_b128 v44, v[28:31] offset:896
	ds_write_b128 v44, v[20:23] offset:1024
	ds_write_b128 v44, v[12:15] offset:1152
	ds_write_b128 v44, v[4:7] offset:1280
	ds_write_b128 v44, v[40:43]
	s_waitcnt lgkmcnt(0)
	s_barrier
	buffer_gl0_inv
	s_and_saveexec_b32 s33, vcc_lo
	s_cbranch_execz .LBB0_27
; %bb.26:
	v_mul_u32_u24_e32 v0, 10, v91
	v_mul_lo_u32 v56, s3, v87
	v_mul_lo_u32 v57, s2, v88
	v_mad_u64_u32 v[72:73], null, s2, v87, 0
	v_lshlrev_b32_e32 v36, 4, v0
	v_lshlrev_b64 v[84:85], 4, v[84:85]
	v_mov_b32_e32 v87, 0
	s_clause 0x9
	global_load_dwordx4 v[4:7], v36, s[12:13] offset:1440
	global_load_dwordx4 v[0:3], v36, s[12:13] offset:1456
	;; [unrolled: 1-line block ×10, first 2 shown]
	v_add3_u32 v73, v73, v57, v56
	ds_read_b128 v[40:43], v90 offset:7040
	ds_read_b128 v[44:47], v90 offset:5632
	;; [unrolled: 1-line block ×8, first 2 shown]
	v_lshlrev_b64 v[86:87], 4, v[86:87]
	v_lshlrev_b64 v[91:92], 4, v[72:73]
	ds_read_b128 v[72:75], v89
	ds_read_b128 v[76:79], v90 offset:1408
	ds_read_b128 v[80:83], v90 offset:14080
	v_add_co_u32 v88, vcc_lo, s10, v91
	v_add_co_ci_u32_e32 v89, vcc_lo, s11, v92, vcc_lo
	v_add_co_u32 v106, vcc_lo, v88, v84
	v_add_co_ci_u32_e32 v107, vcc_lo, v89, v85, vcc_lo
	;; [unrolled: 2-line block ×3, first 2 shown]
	s_waitcnt vmcnt(9) lgkmcnt(10)
	v_mul_f64 v[84:85], v[6:7], v[42:43]
	s_waitcnt vmcnt(8) lgkmcnt(8)
	v_mul_f64 v[88:89], v[2:3], v[50:51]
	v_mul_f64 v[2:3], v[48:49], v[2:3]
	s_waitcnt vmcnt(7)
	v_mul_f64 v[90:91], v[18:19], v[46:47]
	v_mul_f64 v[18:19], v[44:45], v[18:19]
	s_waitcnt vmcnt(4) lgkmcnt(4)
	v_mul_f64 v[96:97], v[10:11], v[66:67]
	v_mul_f64 v[10:11], v[64:65], v[10:11]
	s_waitcnt vmcnt(3)
	v_mul_f64 v[98:99], v[26:27], v[62:63]
	v_mul_f64 v[26:27], v[60:61], v[26:27]
	s_waitcnt vmcnt(1) lgkmcnt(1)
	v_mul_f64 v[102:103], v[34:35], v[78:79]
	s_waitcnt vmcnt(0) lgkmcnt(0)
	v_mul_f64 v[104:105], v[38:39], v[82:83]
	v_mul_f64 v[34:35], v[76:77], v[34:35]
	;; [unrolled: 1-line block ×10, first 2 shown]
	v_fma_f64 v[40:41], v[4:5], v[40:41], v[84:85]
	v_fma_f64 v[48:49], v[0:1], v[48:49], v[88:89]
	v_fma_f64 v[0:1], v[0:1], v[50:51], -v[2:3]
	v_fma_f64 v[2:3], v[16:17], v[44:45], v[90:91]
	v_fma_f64 v[16:17], v[16:17], v[46:47], -v[18:19]
	;; [unrolled: 2-line block ×3, first 2 shown]
	v_fma_f64 v[10:11], v[24:25], v[62:63], -v[26:27]
	v_fma_f64 v[44:45], v[32:33], v[76:77], v[102:103]
	v_fma_f64 v[46:47], v[36:37], v[80:81], v[104:105]
	v_fma_f64 v[26:27], v[32:33], v[78:79], -v[34:35]
	v_fma_f64 v[50:51], v[36:37], v[82:83], -v[38:39]
	;; [unrolled: 1-line block ×3, first 2 shown]
	v_fma_f64 v[6:7], v[12:13], v[52:53], v[92:93]
	v_fma_f64 v[12:13], v[12:13], v[54:55], -v[14:15]
	v_fma_f64 v[14:15], v[20:21], v[56:57], v[94:95]
	v_fma_f64 v[20:21], v[20:21], v[58:59], -v[22:23]
	v_fma_f64 v[22:23], v[24:25], v[60:61], v[98:99]
	v_fma_f64 v[42:43], v[28:29], v[68:69], v[100:101]
	v_fma_f64 v[24:25], v[28:29], v[70:71], -v[30:31]
	v_add_co_u32 v52, vcc_lo, 0x800, v86
	v_add_f64 v[28:29], v[40:41], -v[48:49]
	v_add_f64 v[80:81], v[40:41], v[48:49]
	v_add_co_ci_u32_e32 v53, vcc_lo, 0, v87, vcc_lo
	v_add_co_u32 v54, vcc_lo, 0x1000, v86
	v_add_co_ci_u32_e32 v55, vcc_lo, 0, v87, vcc_lo
	v_add_co_u32 v56, vcc_lo, 0x1800, v86
	v_add_f64 v[36:37], v[44:45], -v[46:47]
	v_add_f64 v[64:65], v[26:27], -v[50:51]
	v_add_f64 v[78:79], v[26:27], v[50:51]
	v_add_f64 v[90:91], v[44:45], v[46:47]
	;; [unrolled: 1-line block ×4, first 2 shown]
	v_add_f64 v[32:33], v[14:15], -v[18:19]
	v_add_f64 v[84:85], v[14:15], v[18:19]
	v_add_f64 v[34:35], v[22:23], -v[42:43]
	v_add_f64 v[62:63], v[10:11], -v[24:25]
	v_add_f64 v[76:77], v[10:11], v[24:25]
	v_add_f64 v[88:89], v[22:23], v[42:43]
	v_add_f64 v[30:31], v[2:3], -v[6:7]
	v_add_f64 v[38:39], v[4:5], -v[0:1]
	;; [unrolled: 1-line block ×4, first 2 shown]
	v_add_f64 v[82:83], v[2:3], v[6:7]
	v_add_f64 v[66:67], v[4:5], v[0:1]
	;; [unrolled: 1-line block ×4, first 2 shown]
	v_mul_f64 v[92:93], v[28:29], s[22:23]
	v_mul_f64 v[112:113], v[28:29], s[24:25]
	v_mul_f64 v[100:101], v[36:37], s[30:31]
	v_mul_f64 v[110:111], v[64:65], s[30:31]
	v_mul_f64 v[120:121], v[36:37], s[28:29]
	v_mul_f64 v[130:131], v[64:65], s[28:29]
	v_add_f64 v[10:11], v[10:11], v[26:27]
	v_add_f64 v[22:23], v[22:23], v[44:45]
	v_mul_f64 v[140:141], v[36:37], s[22:23]
	v_mul_f64 v[150:151], v[64:65], s[22:23]
	v_mul_f64 v[160:161], v[36:37], s[18:19]
	v_mul_f64 v[170:171], v[64:65], s[18:19]
	v_mul_f64 v[36:37], v[36:37], s[14:15]
	v_mul_f64 v[64:65], v[64:65], s[14:15]
	v_mul_f64 v[98:99], v[34:35], s[20:21]
	v_mul_f64 v[108:109], v[62:63], s[20:21]
	v_mul_f64 v[118:119], v[34:35], s[26:27]
	v_mul_f64 v[128:129], v[62:63], s[26:27]
	v_mul_f64 v[138:139], v[34:35], s[34:35]
	v_mul_f64 v[148:149], v[62:63], s[34:35]
	v_mul_f64 v[158:159], v[34:35], s[28:29]
	v_mul_f64 v[168:169], v[62:63], s[28:29]
	v_mul_f64 v[34:35], v[34:35], s[18:19]
	v_mul_f64 v[62:63], v[62:63], s[18:19]
	v_fma_f64 v[176:177], v[78:79], s[16:17], v[100:101]
	v_fma_f64 v[100:101], v[78:79], s[16:17], -v[100:101]
	v_fma_f64 v[196:197], v[78:79], s[8:9], v[120:121]
	v_fma_f64 v[120:121], v[78:79], s[8:9], -v[120:121]
	v_add_f64 v[10:11], v[20:21], v[10:11]
	v_add_f64 v[14:15], v[14:15], v[22:23]
	v_fma_f64 v[216:217], v[78:79], s[6:7], v[140:141]
	v_fma_f64 v[140:141], v[78:79], s[6:7], -v[140:141]
	v_fma_f64 v[232:233], v[78:79], s[4:5], v[160:161]
	v_fma_f64 v[160:161], v[78:79], s[4:5], -v[160:161]
	;; [unrolled: 2-line block ×3, first 2 shown]
	v_fma_f64 v[78:79], v[90:91], s[0:1], -v[64:65]
	v_fma_f64 v[64:65], v[90:91], s[0:1], v[64:65]
	v_mul_f64 v[94:95], v[30:31], s[24:25]
	v_mul_f64 v[96:97], v[32:33], s[28:29]
	;; [unrolled: 1-line block ×12, first 2 shown]
	v_add_f64 v[10:11], v[16:17], v[10:11]
	v_add_f64 v[2:3], v[2:3], v[14:15]
	v_mul_f64 v[136:137], v[32:33], s[24:25]
	v_mul_f64 v[142:143], v[38:39], s[28:29]
	;; [unrolled: 1-line block ×16, first 2 shown]
	v_fma_f64 v[186:187], v[90:91], s[16:17], -v[110:111]
	v_fma_f64 v[110:111], v[90:91], s[16:17], v[110:111]
	v_fma_f64 v[206:207], v[90:91], s[8:9], -v[130:131]
	v_fma_f64 v[130:131], v[90:91], s[8:9], v[130:131]
	;; [unrolled: 2-line block ×4, first 2 shown]
	v_add_f64 v[4:5], v[4:5], v[10:11]
	v_add_f64 v[2:3], v[40:41], v[2:3]
	v_fma_f64 v[246:247], v[76:77], s[4:5], v[34:35]
	v_fma_f64 v[90:91], v[88:89], s[4:5], -v[62:63]
	v_fma_f64 v[34:35], v[76:77], s[4:5], -v[34:35]
	v_fma_f64 v[62:63], v[88:89], s[4:5], v[62:63]
	v_add_f64 v[36:37], v[74:75], v[36:37]
	v_add_f64 v[64:65], v[72:73], v[64:65]
	v_fma_f64 v[26:27], v[66:67], s[6:7], v[92:93]
	v_fma_f64 v[44:45], v[68:69], s[4:5], v[94:95]
	v_fma_f64 v[172:173], v[70:71], s[8:9], v[96:97]
	v_fma_f64 v[174:175], v[76:77], s[0:1], v[98:99]
	v_fma_f64 v[178:179], v[80:81], s[6:7], -v[102:103]
	v_fma_f64 v[180:181], v[82:83], s[4:5], -v[104:105]
	v_fma_f64 v[182:183], v[84:85], s[8:9], -v[106:107]
	v_fma_f64 v[184:185], v[88:89], s[0:1], -v[108:109]
	v_fma_f64 v[92:93], v[66:67], s[6:7], -v[92:93]
	v_fma_f64 v[94:95], v[68:69], s[4:5], -v[94:95]
	v_fma_f64 v[96:97], v[70:71], s[8:9], -v[96:97]
	v_fma_f64 v[98:99], v[76:77], s[0:1], -v[98:99]
	v_fma_f64 v[102:103], v[80:81], s[6:7], v[102:103]
	v_fma_f64 v[104:105], v[82:83], s[4:5], v[104:105]
	v_fma_f64 v[106:107], v[84:85], s[8:9], v[106:107]
	v_fma_f64 v[108:109], v[88:89], s[0:1], v[108:109]
	v_fma_f64 v[188:189], v[66:67], s[4:5], v[112:113]
	v_fma_f64 v[190:191], v[68:69], s[16:17], v[114:115]
	v_fma_f64 v[192:193], v[70:71], s[0:1], v[116:117]
	v_fma_f64 v[194:195], v[76:77], s[6:7], v[118:119]
	v_fma_f64 v[198:199], v[80:81], s[4:5], -v[122:123]
	v_fma_f64 v[200:201], v[82:83], s[16:17], -v[124:125]
	v_fma_f64 v[202:203], v[84:85], s[0:1], -v[126:127]
	v_fma_f64 v[204:205], v[88:89], s[6:7], -v[128:129]
	v_fma_f64 v[112:113], v[66:67], s[4:5], -v[112:113]
	v_fma_f64 v[114:115], v[68:69], s[16:17], -v[114:115]
	v_fma_f64 v[116:117], v[70:71], s[0:1], -v[116:117]
	v_fma_f64 v[118:119], v[76:77], s[6:7], -v[118:119]
	v_fma_f64 v[122:123], v[80:81], s[4:5], v[122:123]
	v_fma_f64 v[124:125], v[82:83], s[16:17], v[124:125]
	v_fma_f64 v[126:127], v[84:85], s[0:1], v[126:127]
	v_fma_f64 v[128:129], v[88:89], s[6:7], v[128:129]
	;; [unrolled: 16-line block ×4, first 2 shown]
	v_fma_f64 v[244:245], v[66:67], s[16:17], v[28:29]
	v_fma_f64 v[14:15], v[68:69], s[8:9], v[30:31]
	;; [unrolled: 1-line block ×3, first 2 shown]
	v_fma_f64 v[250:251], v[80:81], s[16:17], -v[38:39]
	v_fma_f64 v[28:29], v[66:67], s[16:17], -v[28:29]
	;; [unrolled: 1-line block ×6, first 2 shown]
	v_fma_f64 v[38:39], v[80:81], s[16:17], v[38:39]
	v_fma_f64 v[58:59], v[82:83], s[8:9], v[58:59]
	;; [unrolled: 1-line block ×3, first 2 shown]
	v_add_f64 v[10:11], v[74:75], v[176:177]
	v_add_f64 v[40:41], v[72:73], v[186:187]
	v_add_f64 v[70:71], v[74:75], v[100:101]
	v_add_f64 v[76:77], v[72:73], v[110:111]
	v_add_f64 v[80:81], v[74:75], v[196:197]
	v_add_f64 v[82:83], v[72:73], v[206:207]
	v_add_f64 v[84:85], v[74:75], v[120:121]
	v_add_f64 v[88:89], v[72:73], v[130:131]
	v_add_f64 v[100:101], v[74:75], v[216:217]
	v_add_f64 v[120:121], v[74:75], v[160:161]
	v_add_f64 v[130:131], v[72:73], v[170:171]
	v_add_f64 v[110:111], v[74:75], v[140:141]
	v_add_f64 v[140:141], v[72:73], v[150:151]
	v_add_f64 v[150:151], v[72:73], v[226:227]
	v_add_f64 v[160:161], v[74:75], v[232:233]
	v_add_f64 v[170:171], v[72:73], v[242:243]
	v_add_f64 v[72:73], v[72:73], v[78:79]
	v_add_f64 v[0:1], v[0:1], v[4:5]
	v_add_f64 v[2:3], v[48:49], v[2:3]
	v_add_f64 v[74:75], v[74:75], v[248:249]
	v_add_f64 v[34:35], v[34:35], v[36:37]
	v_add_f64 v[36:37], v[62:63], v[64:65]
	v_add_f64 v[4:5], v[174:175], v[10:11]
	v_add_f64 v[10:11], v[184:185], v[40:41]
	v_add_f64 v[40:41], v[98:99], v[70:71]
	v_add_f64 v[48:49], v[108:109], v[76:77]
	v_add_f64 v[70:71], v[194:195], v[80:81]
	v_add_f64 v[76:77], v[204:205], v[82:83]
	v_add_f64 v[78:79], v[118:119], v[84:85]
	v_add_f64 v[80:81], v[128:129], v[88:89]
	v_add_f64 v[82:83], v[214:215], v[100:101]
	v_add_f64 v[88:89], v[158:159], v[120:121]
	v_add_f64 v[62:63], v[168:169], v[130:131]
	v_add_f64 v[84:85], v[138:139], v[110:111]
	v_add_f64 v[64:65], v[148:149], v[140:141]
	v_add_f64 v[98:99], v[224:225], v[150:151]
	v_add_f64 v[100:101], v[230:231], v[160:161]
	v_add_f64 v[108:109], v[240:241], v[170:171]
	v_add_f64 v[72:73], v[90:91], v[72:73]
	v_add_f64 v[0:1], v[12:13], v[0:1]
	v_add_f64 v[2:3], v[6:7], v[2:3]
	v_add_f64 v[74:75], v[246:247], v[74:75]
	v_add_f64 v[32:33], v[32:33], v[34:35]
	v_add_f64 v[34:35], v[60:61], v[36:37]
	v_add_f64 v[4:5], v[172:173], v[4:5]
	v_add_f64 v[6:7], v[182:183], v[10:11]
	v_add_f64 v[10:11], v[96:97], v[40:41]
	v_add_f64 v[12:13], v[106:107], v[48:49]
	v_add_f64 v[40:41], v[192:193], v[70:71]
	v_add_f64 v[48:49], v[202:203], v[76:77]
	v_add_f64 v[70:71], v[116:117], v[78:79]
	v_add_f64 v[76:77], v[126:127], v[80:81]
	v_add_f64 v[78:79], v[212:213], v[82:83]
	v_add_f64 v[82:83], v[156:157], v[88:89]
	v_add_f64 v[36:37], v[166:167], v[62:63]
	v_add_f64 v[80:81], v[136:137], v[84:85]
	v_add_f64 v[60:61], v[146:147], v[64:65]
	v_add_f64 v[62:63], v[222:223], v[98:99]
	v_add_f64 v[22:23], v[22:23], v[100:101]
	v_add_f64 v[64:65], v[238:239], v[108:109]
	v_add_f64 v[68:69], v[68:69], v[72:73]
	v_add_f64 v[0:1], v[8:9], v[0:1]
	v_add_f64 v[2:3], v[18:19], v[2:3]
	v_add_f64 v[16:17], v[16:17], v[74:75]
	v_add_f64 v[30:31], v[30:31], v[32:33]
	v_add_f64 v[32:33], v[58:59], v[34:35]
	v_add_f64 v[4:5], v[44:45], v[4:5]
	v_add_f64 v[6:7], v[180:181], v[6:7]
	v_add_f64 v[8:9], v[94:95], v[10:11]
	v_add_f64 v[10:11], v[104:105], v[12:13]
	v_add_f64 v[12:13], v[190:191], v[40:41]
	v_add_f64 v[18:19], v[200:201], v[48:49]
	v_add_f64 v[40:41], v[114:115], v[70:71]
	v_add_f64 v[44:45], v[124:125], v[76:77]
	v_add_f64 v[48:49], v[210:211], v[78:79]
	v_add_f64 v[72:73], v[154:155], v[82:83]
	v_add_f64 v[34:35], v[164:165], v[36:37]
	v_add_f64 v[70:71], v[134:135], v[80:81]
	v_add_f64 v[36:37], v[144:145], v[60:61]
	v_add_f64 v[58:59], v[220:221], v[62:63]
	v_add_f64 v[60:61], v[20:21], v[22:23]
	v_add_f64 v[62:63], v[236:237], v[64:65]
	v_add_f64 v[66:67], v[66:67], v[68:69]
	v_add_f64 v[68:69], v[24:25], v[0:1]
	v_add_f64 v[74:75], v[42:43], v[2:3]
	v_add_f64 v[64:65], v[14:15], v[16:17]
	v_add_f64 v[30:31], v[28:29], v[30:31]
	v_add_f64 v[28:29], v[38:39], v[32:33]
	v_add_f64 v[2:3], v[26:27], v[4:5]
	v_add_f64 v[0:1], v[178:179], v[6:7]
	v_add_f64 v[6:7], v[92:93], v[8:9]
	v_add_f64 v[4:5], v[102:103], v[10:11]
	v_add_f64 v[10:11], v[188:189], v[12:13]
	v_add_f64 v[8:9], v[198:199], v[18:19]
	v_add_f64 v[14:15], v[112:113], v[40:41]
	v_add_f64 v[12:13], v[122:123], v[44:45]
	v_add_f64 v[18:19], v[208:209], v[48:49]
	v_add_f64 v[26:27], v[152:153], v[72:73]
	v_add_f64 v[24:25], v[162:163], v[34:35]
	v_add_f64 v[22:23], v[132:133], v[70:71]
	v_add_f64 v[20:21], v[142:143], v[36:37]
	v_add_f64 v[16:17], v[218:219], v[58:59]
	v_add_f64 v[34:35], v[228:229], v[60:61]
	v_add_f64 v[32:33], v[234:235], v[62:63]
	v_add_f64 v[36:37], v[250:251], v[66:67]
	v_add_f64 v[42:43], v[50:51], v[68:69]
	v_add_f64 v[40:41], v[46:47], v[74:75]
	v_add_f64 v[38:39], v[244:245], v[64:65]
	v_add_co_ci_u32_e32 v57, vcc_lo, 0, v87, vcc_lo
	v_add_co_u32 v44, vcc_lo, 0x2000, v86
	v_add_co_ci_u32_e32 v45, vcc_lo, 0, v87, vcc_lo
	v_add_co_u32 v46, vcc_lo, 0x2800, v86
	;; [unrolled: 2-line block ×3, first 2 shown]
	v_add_co_ci_u32_e32 v49, vcc_lo, 0, v87, vcc_lo
	global_store_dwordx4 v[86:87], v[28:31], off offset:1408
	global_store_dwordx4 v[52:53], v[24:27], off offset:768
	;; [unrolled: 1-line block ×9, first 2 shown]
	global_store_dwordx4 v[86:87], v[40:43], off
	global_store_dwordx4 v[48:49], v[36:39], off offset:1792
.LBB0_27:
	s_endpgm
	.section	.rodata,"a",@progbits
	.p2align	6, 0x0
	.amdhsa_kernel fft_rtc_back_len968_factors_2_2_2_11_11_wgs_176_tpt_88_dp_op_CI_CI_unitstride_sbrr_dirReg
		.amdhsa_group_segment_fixed_size 0
		.amdhsa_private_segment_fixed_size 0
		.amdhsa_kernarg_size 104
		.amdhsa_user_sgpr_count 6
		.amdhsa_user_sgpr_private_segment_buffer 1
		.amdhsa_user_sgpr_dispatch_ptr 0
		.amdhsa_user_sgpr_queue_ptr 0
		.amdhsa_user_sgpr_kernarg_segment_ptr 1
		.amdhsa_user_sgpr_dispatch_id 0
		.amdhsa_user_sgpr_flat_scratch_init 0
		.amdhsa_user_sgpr_private_segment_size 0
		.amdhsa_wavefront_size32 1
		.amdhsa_uses_dynamic_stack 0
		.amdhsa_system_sgpr_private_segment_wavefront_offset 0
		.amdhsa_system_sgpr_workgroup_id_x 1
		.amdhsa_system_sgpr_workgroup_id_y 0
		.amdhsa_system_sgpr_workgroup_id_z 0
		.amdhsa_system_sgpr_workgroup_info 0
		.amdhsa_system_vgpr_workitem_id 0
		.amdhsa_next_free_vgpr 252
		.amdhsa_next_free_sgpr 38
		.amdhsa_reserve_vcc 1
		.amdhsa_reserve_flat_scratch 0
		.amdhsa_float_round_mode_32 0
		.amdhsa_float_round_mode_16_64 0
		.amdhsa_float_denorm_mode_32 3
		.amdhsa_float_denorm_mode_16_64 3
		.amdhsa_dx10_clamp 1
		.amdhsa_ieee_mode 1
		.amdhsa_fp16_overflow 0
		.amdhsa_workgroup_processor_mode 1
		.amdhsa_memory_ordered 1
		.amdhsa_forward_progress 0
		.amdhsa_shared_vgpr_count 0
		.amdhsa_exception_fp_ieee_invalid_op 0
		.amdhsa_exception_fp_denorm_src 0
		.amdhsa_exception_fp_ieee_div_zero 0
		.amdhsa_exception_fp_ieee_overflow 0
		.amdhsa_exception_fp_ieee_underflow 0
		.amdhsa_exception_fp_ieee_inexact 0
		.amdhsa_exception_int_div_zero 0
	.end_amdhsa_kernel
	.text
.Lfunc_end0:
	.size	fft_rtc_back_len968_factors_2_2_2_11_11_wgs_176_tpt_88_dp_op_CI_CI_unitstride_sbrr_dirReg, .Lfunc_end0-fft_rtc_back_len968_factors_2_2_2_11_11_wgs_176_tpt_88_dp_op_CI_CI_unitstride_sbrr_dirReg
                                        ; -- End function
	.section	.AMDGPU.csdata,"",@progbits
; Kernel info:
; codeLenInByte = 10056
; NumSgprs: 40
; NumVgprs: 252
; ScratchSize: 0
; MemoryBound: 1
; FloatMode: 240
; IeeeMode: 1
; LDSByteSize: 0 bytes/workgroup (compile time only)
; SGPRBlocks: 4
; VGPRBlocks: 31
; NumSGPRsForWavesPerEU: 40
; NumVGPRsForWavesPerEU: 252
; Occupancy: 4
; WaveLimiterHint : 1
; COMPUTE_PGM_RSRC2:SCRATCH_EN: 0
; COMPUTE_PGM_RSRC2:USER_SGPR: 6
; COMPUTE_PGM_RSRC2:TRAP_HANDLER: 0
; COMPUTE_PGM_RSRC2:TGID_X_EN: 1
; COMPUTE_PGM_RSRC2:TGID_Y_EN: 0
; COMPUTE_PGM_RSRC2:TGID_Z_EN: 0
; COMPUTE_PGM_RSRC2:TIDIG_COMP_CNT: 0
	.text
	.p2alignl 6, 3214868480
	.fill 48, 4, 3214868480
	.type	__hip_cuid_cf6f5e5fc2b06574,@object ; @__hip_cuid_cf6f5e5fc2b06574
	.section	.bss,"aw",@nobits
	.globl	__hip_cuid_cf6f5e5fc2b06574
__hip_cuid_cf6f5e5fc2b06574:
	.byte	0                               ; 0x0
	.size	__hip_cuid_cf6f5e5fc2b06574, 1

	.ident	"AMD clang version 19.0.0git (https://github.com/RadeonOpenCompute/llvm-project roc-6.4.0 25133 c7fe45cf4b819c5991fe208aaa96edf142730f1d)"
	.section	".note.GNU-stack","",@progbits
	.addrsig
	.addrsig_sym __hip_cuid_cf6f5e5fc2b06574
	.amdgpu_metadata
---
amdhsa.kernels:
  - .args:
      - .actual_access:  read_only
        .address_space:  global
        .offset:         0
        .size:           8
        .value_kind:     global_buffer
      - .offset:         8
        .size:           8
        .value_kind:     by_value
      - .actual_access:  read_only
        .address_space:  global
        .offset:         16
        .size:           8
        .value_kind:     global_buffer
      - .actual_access:  read_only
        .address_space:  global
        .offset:         24
        .size:           8
        .value_kind:     global_buffer
      - .actual_access:  read_only
        .address_space:  global
        .offset:         32
        .size:           8
        .value_kind:     global_buffer
      - .offset:         40
        .size:           8
        .value_kind:     by_value
      - .actual_access:  read_only
        .address_space:  global
        .offset:         48
        .size:           8
        .value_kind:     global_buffer
      - .actual_access:  read_only
        .address_space:  global
        .offset:         56
        .size:           8
        .value_kind:     global_buffer
      - .offset:         64
        .size:           4
        .value_kind:     by_value
      - .actual_access:  read_only
        .address_space:  global
        .offset:         72
        .size:           8
        .value_kind:     global_buffer
      - .actual_access:  read_only
        .address_space:  global
        .offset:         80
        .size:           8
        .value_kind:     global_buffer
      - .actual_access:  read_only
        .address_space:  global
        .offset:         88
        .size:           8
        .value_kind:     global_buffer
      - .actual_access:  write_only
        .address_space:  global
        .offset:         96
        .size:           8
        .value_kind:     global_buffer
    .group_segment_fixed_size: 0
    .kernarg_segment_align: 8
    .kernarg_segment_size: 104
    .language:       OpenCL C
    .language_version:
      - 2
      - 0
    .max_flat_workgroup_size: 176
    .name:           fft_rtc_back_len968_factors_2_2_2_11_11_wgs_176_tpt_88_dp_op_CI_CI_unitstride_sbrr_dirReg
    .private_segment_fixed_size: 0
    .sgpr_count:     40
    .sgpr_spill_count: 0
    .symbol:         fft_rtc_back_len968_factors_2_2_2_11_11_wgs_176_tpt_88_dp_op_CI_CI_unitstride_sbrr_dirReg.kd
    .uniform_work_group_size: 1
    .uses_dynamic_stack: false
    .vgpr_count:     252
    .vgpr_spill_count: 0
    .wavefront_size: 32
    .workgroup_processor_mode: 1
amdhsa.target:   amdgcn-amd-amdhsa--gfx1030
amdhsa.version:
  - 1
  - 2
...

	.end_amdgpu_metadata
